;; amdgpu-corpus repo=ROCm/rocFFT kind=compiled arch=gfx1201 opt=O3
	.text
	.amdgcn_target "amdgcn-amd-amdhsa--gfx1201"
	.amdhsa_code_object_version 6
	.protected	fft_rtc_fwd_len256_factors_2_4_4_8_wgs_128_tpt_32_dim2_sp_op_CI_CI_sbrr_dirReg ; -- Begin function fft_rtc_fwd_len256_factors_2_4_4_8_wgs_128_tpt_32_dim2_sp_op_CI_CI_sbrr_dirReg
	.globl	fft_rtc_fwd_len256_factors_2_4_4_8_wgs_128_tpt_32_dim2_sp_op_CI_CI_sbrr_dirReg
	.p2align	8
	.type	fft_rtc_fwd_len256_factors_2_4_4_8_wgs_128_tpt_32_dim2_sp_op_CI_CI_sbrr_dirReg,@function
fft_rtc_fwd_len256_factors_2_4_4_8_wgs_128_tpt_32_dim2_sp_op_CI_CI_sbrr_dirReg: ; @fft_rtc_fwd_len256_factors_2_4_4_8_wgs_128_tpt_32_dim2_sp_op_CI_CI_sbrr_dirReg
; %bb.0:
	s_load_b64 s[2:3], s[0:1], 0x8
	v_lshrrev_b32_e32 v23, 5, v0
	v_dual_mov_b32 v4, 0 :: v_dual_mov_b32 v1, 0
	v_mov_b32_e32 v2, 0
	s_mov_b32 s4, exec_lo
	s_delay_alu instid0(VALU_DEP_3) | instskip(SKIP_3) | instid1(VALU_DEP_1)
	v_lshl_or_b32 v3, ttmp9, 2, v23
	s_wait_kmcnt 0x0
	s_load_b64 s[2:3], s[2:3], 0x8
	s_wait_kmcnt 0x0
	v_cmpx_le_u64_e64 s[2:3], v[3:4]
	s_cbranch_execz .LBB0_2
; %bb.1:
	v_cvt_f32_u32_e32 v1, s2
	s_sub_co_i32 s5, 0, s2
	s_delay_alu instid0(VALU_DEP_1) | instskip(NEXT) | instid1(TRANS32_DEP_1)
	v_rcp_iflag_f32_e32 v1, v1
	v_mul_f32_e32 v1, 0x4f7ffffe, v1
	s_delay_alu instid0(VALU_DEP_1) | instskip(NEXT) | instid1(VALU_DEP_1)
	v_cvt_u32_f32_e32 v1, v1
	v_mul_lo_u32 v2, s5, v1
	s_delay_alu instid0(VALU_DEP_1) | instskip(NEXT) | instid1(VALU_DEP_1)
	v_mul_hi_u32 v2, v1, v2
	v_add_nc_u32_e32 v1, v1, v2
	s_delay_alu instid0(VALU_DEP_1) | instskip(NEXT) | instid1(VALU_DEP_1)
	v_mul_hi_u32 v1, v3, v1
	v_mul_lo_u32 v2, v1, s2
	v_add_nc_u32_e32 v5, 1, v1
	s_delay_alu instid0(VALU_DEP_2) | instskip(NEXT) | instid1(VALU_DEP_1)
	v_sub_nc_u32_e32 v2, v3, v2
	v_subrev_nc_u32_e32 v6, s2, v2
	v_cmp_le_u32_e32 vcc_lo, s2, v2
	s_delay_alu instid0(VALU_DEP_2) | instskip(NEXT) | instid1(VALU_DEP_1)
	v_dual_cndmask_b32 v2, v2, v6 :: v_dual_cndmask_b32 v1, v1, v5
	v_cmp_le_u32_e32 vcc_lo, s2, v2
	s_delay_alu instid0(VALU_DEP_2) | instskip(SKIP_1) | instid1(VALU_DEP_1)
	v_dual_mov_b32 v2, v4 :: v_dual_add_nc_u32 v5, 1, v1
	s_wait_alu 0xfffd
	v_cndmask_b32_e32 v1, v1, v5, vcc_lo
.LBB0_2:
	s_or_b32 exec_lo, exec_lo, s4
	s_clause 0x1
	s_load_b128 s[4:7], s[0:1], 0x18
	s_load_b64 s[12:13], s[0:1], 0x0
	v_mad_co_u64_u32 v[4:5], null, v1, s2, 0
	v_and_b32_e32 v20, 31, v0
                                        ; implicit-def: $vgpr22
                                        ; implicit-def: $vgpr24
                                        ; implicit-def: $vgpr25
	s_delay_alu instid0(VALU_DEP_2) | instskip(NEXT) | instid1(VALU_DEP_3)
	v_mad_co_u64_u32 v[5:6], null, v1, s3, v[5:6]
	v_sub_co_u32 v18, s3, v3, v4
	s_wait_alu 0xf1ff
	s_delay_alu instid0(VALU_DEP_2) | instskip(SKIP_3) | instid1(VALU_DEP_1)
	v_sub_co_ci_u32_e64 v19, s3, 0, v5, s3
	s_wait_kmcnt 0x0
	v_cmp_gt_u64_e32 vcc_lo, s[6:7], v[1:2]
	v_cmp_le_u64_e64 s2, s[6:7], v[1:2]
                                        ; implicit-def: $sgpr6_sgpr7
                                        ; implicit-def: $sgpr3
	s_and_saveexec_b32 s8, s2
	s_delay_alu instid0(SALU_CYCLE_1)
	s_xor_b32 s2, exec_lo, s8
; %bb.3:
	v_and_b32_e32 v20, 31, v0
	s_mov_b32 s3, 0
	s_mov_b64 s[6:7], 0
	s_delay_alu instid0(VALU_DEP_1)
	v_or_b32_e32 v22, 32, v20
	v_or_b32_e32 v24, 64, v20
	;; [unrolled: 1-line block ×3, first 2 shown]
; %bb.4:
	s_wait_alu 0xfffe
	s_or_saveexec_b32 s14, s2
	v_dual_mov_b32 v9, s7 :: v_dual_mov_b32 v4, s6
	v_dual_mov_b32 v5, s7 :: v_dual_mov_b32 v6, s6
	;; [unrolled: 1-line block ×4, first 2 shown]
	v_mov_b32_e32 v7, s7
                                        ; implicit-def: $vgpr17
                                        ; implicit-def: $vgpr15
                                        ; implicit-def: $vgpr11
                                        ; implicit-def: $vgpr13
	s_xor_b32 exec_lo, exec_lo, s14
	s_cbranch_execz .LBB0_6
; %bb.5:
	s_load_b64 s[2:3], s[0:1], 0x10
	v_or_b32_e32 v21, 0x80, v20
	v_or_b32_e32 v22, 32, v20
	;; [unrolled: 1-line block ×7, first 2 shown]
	s_wait_kmcnt 0x0
	s_clause 0x1
	s_load_b128 s[8:11], s[2:3], 0x0
	s_load_b64 s[6:7], s[2:3], 0x10
	s_load_b64 s[2:3], s[0:1], 0x50
	s_wait_kmcnt 0x0
	v_mul_lo_u32 v30, s11, v18
	v_mul_lo_u32 v31, s10, v19
	v_mad_co_u64_u32 v[2:3], null, s10, v18, 0
	v_mad_co_u64_u32 v[4:5], null, s6, v1, 0
	;; [unrolled: 1-line block ×4, first 2 shown]
	s_delay_alu instid0(VALU_DEP_4)
	v_add3_u32 v3, v3, v31, v30
	v_mad_co_u64_u32 v[10:11], null, s8, v22, 0
	v_mad_co_u64_u32 v[12:13], null, s8, v35, 0
	;; [unrolled: 1-line block ×6, first 2 shown]
	s_delay_alu instid0(VALU_DEP_4) | instskip(SKIP_2) | instid1(VALU_DEP_3)
	v_mov_b32_e32 v5, v30
	v_mad_co_u64_u32 v[16:17], null, s8, v37, 0
	v_mad_co_u64_u32 v[32:33], null, s9, v21, v[9:10]
	v_lshlrev_b64_e32 v[4:5], 3, v[4:5]
	v_mad_co_u64_u32 v[33:34], null, s9, v22, v[11:12]
	v_lshlrev_b64_e32 v[2:3], 3, v[2:3]
	v_mad_co_u64_u32 v[34:35], null, s9, v35, v[13:14]
	v_mov_b32_e32 v7, v31
	v_mad_co_u64_u32 v[35:36], null, s9, v24, v[15:16]
	v_add_co_u32 v15, s2, s2, v4
	v_mad_co_u64_u32 v[36:37], null, s9, v37, v[17:18]
	v_mov_b32_e32 v9, v32
	s_wait_alu 0xf1ff
	v_add_co_ci_u32_e64 v17, s2, s3, v5, s2
	v_lshlrev_b64_e32 v[6:7], 3, v[6:7]
	v_mov_b32_e32 v11, v33
	v_add_co_u32 v21, s2, v15, v2
	v_lshlrev_b64_e32 v[4:5], 3, v[8:9]
	s_wait_alu 0xf1ff
	v_add_co_ci_u32_e64 v31, s2, v17, v3, s2
	v_lshlrev_b64_e32 v[2:3], 3, v[10:11]
	v_add_co_u32 v6, s2, v21, v6
	s_wait_alu 0xf1ff
	s_delay_alu instid0(VALU_DEP_3)
	v_add_co_ci_u32_e64 v7, s2, v31, v7, s2
	v_add_co_u32 v4, s2, v21, v4
	v_mad_co_u64_u32 v[28:29], null, s8, v38, 0
	s_wait_alu 0xf1ff
	v_add_co_ci_u32_e64 v5, s2, v31, v5, s2
	v_add_co_u32 v8, s2, v21, v2
	v_mov_b32_e32 v2, v27
	s_wait_alu 0xf1ff
	v_add_co_ci_u32_e64 v9, s2, v31, v3, s2
	v_mov_b32_e32 v13, v34
	v_mov_b32_e32 v15, v35
	v_mad_co_u64_u32 v[2:3], null, s9, v25, v[2:3]
	v_mov_b32_e32 v3, v29
	s_delay_alu instid0(VALU_DEP_4) | instskip(NEXT) | instid1(VALU_DEP_4)
	v_lshlrev_b64_e32 v[10:11], 3, v[12:13]
	v_lshlrev_b64_e32 v[12:13], 3, v[14:15]
	v_mov_b32_e32 v17, v36
	s_delay_alu instid0(VALU_DEP_4) | instskip(SKIP_2) | instid1(VALU_DEP_4)
	v_mad_co_u64_u32 v[14:15], null, s9, v38, v[3:4]
	v_mov_b32_e32 v27, v2
	v_add_co_u32 v10, s2, v21, v10
	v_lshlrev_b64_e32 v[15:16], 3, v[16:17]
	s_wait_alu 0xf1ff
	v_add_co_ci_u32_e64 v11, s2, v31, v11, s2
	v_mov_b32_e32 v29, v14
	v_add_co_u32 v12, s2, v21, v12
	v_lshlrev_b64_e32 v[2:3], 3, v[26:27]
	s_wait_alu 0xf1ff
	v_add_co_ci_u32_e64 v13, s2, v31, v13, s2
	v_add_co_u32 v26, s2, v21, v15
	v_lshlrev_b64_e32 v[14:15], 3, v[28:29]
	s_wait_alu 0xf1ff
	v_add_co_ci_u32_e64 v27, s2, v31, v16, s2
	v_add_co_u32 v28, s2, v21, v2
	s_wait_alu 0xf1ff
	v_add_co_ci_u32_e64 v29, s2, v31, v3, s2
	v_add_co_u32 v30, s2, v21, v14
	s_wait_alu 0xf1ff
	v_add_co_ci_u32_e64 v31, s2, v31, v15, s2
	s_clause 0x7
	global_load_b64 v[2:3], v[6:7], off
	global_load_b64 v[16:17], v[4:5], off
	;; [unrolled: 1-line block ×8, first 2 shown]
	v_mov_b32_e32 v21, v20
.LBB0_6:
	s_or_b32 exec_lo, exec_lo, s14
	s_wait_loadcnt 0x6
	v_dual_sub_f32 v16, v2, v16 :: v_dual_sub_f32 v17, v3, v17
	v_lshl_add_u32 v34, v23, 11, 0
	v_and_b32_e32 v30, 1, v0
	s_wait_loadcnt 0x4
	v_dual_sub_f32 v14, v8, v14 :: v_dual_sub_f32 v15, v9, v15
	s_wait_loadcnt 0x2
	v_dual_sub_f32 v10, v4, v10 :: v_dual_sub_f32 v11, v5, v11
	;; [unrolled: 2-line block ×3, first 2 shown]
	v_fma_f32 v2, v2, 2.0, -v16
	v_fma_f32 v3, v3, 2.0, -v17
	v_lshl_add_u32 v23, v20, 4, v34
	v_mul_u32_u24_e32 v26, 3, v30
	v_fma_f32 v8, v8, 2.0, -v14
	v_fma_f32 v9, v9, 2.0, -v15
	v_lshl_add_u32 v31, v22, 4, v34
	v_fma_f32 v4, v4, 2.0, -v10
	v_fma_f32 v5, v5, 2.0, -v11
	v_lshl_add_u32 v28, v24, 4, v34
	;; [unrolled: 3-line block ×3, first 2 shown]
	s_clause 0x1
	s_load_b64 s[2:3], s[4:5], 0x0
	s_load_b128 s[4:7], s[4:5], 0x8
	ds_store_2addr_b64 v23, v[2:3], v[16:17] offset1:1
	ds_store_2addr_b64 v31, v[8:9], v[14:15] offset1:1
	;; [unrolled: 1-line block ×4, first 2 shown]
	v_lshlrev_b32_e32 v2, 3, v26
	global_wb scope:SCOPE_SE
	s_wait_dscnt 0x0
	s_wait_kmcnt 0x0
	s_barrier_signal -1
	s_barrier_wait -1
	global_inv scope:SCOPE_SE
	s_clause 0x1
	global_load_b128 v[6:9], v2, s[12:13]
	global_load_b64 v[26:27], v2, s[12:13] offset:16
	v_lshlrev_b32_e32 v5, 3, v20
	s_delay_alu instid0(VALU_DEP_1)
	v_sub_nc_u32_e32 v3, v23, v5
	ds_load_2addr_b64 v[14:17], v3 offset0:192 offset1:224
	v_lshlrev_b32_e32 v2, 3, v24
	ds_load_2addr_b64 v[10:13], v3 offset0:128 offset1:160
	v_lshlrev_b32_e32 v4, 3, v25
	v_lshlrev_b32_e32 v35, 2, v20
	s_delay_alu instid0(VALU_DEP_2)
	v_sub_nc_u32_e32 v4, v29, v4
	s_wait_loadcnt_dscnt 0x100
	v_mul_f32_e32 v42, v9, v10
	s_wait_loadcnt 0x0
	v_mul_f32_e32 v44, v27, v14
	v_mul_f32_e32 v43, v27, v15
	v_sub_nc_u32_e32 v2, v28, v2
	ds_load_b64 v[28:29], v4
	v_lshlrev_b32_e32 v36, 2, v22
	v_dual_fmac_f32 v42, v8, v11 :: v_dual_and_b32 v37, 7, v0
	ds_load_b64 v[23:24], v2
	v_lshlrev_b32_e32 v25, 3, v22
	v_add_nc_u32_e32 v0, v34, v5
	v_dual_mul_f32 v47, v27, v17 :: v_dual_fmac_f32 v44, v26, v15
	v_mul_f32_e32 v27, v27, v16
	s_delay_alu instid0(VALU_DEP_4) | instskip(SKIP_3) | instid1(VALU_DEP_3)
	v_sub_nc_u32_e32 v5, v31, v25
	v_mul_u32_u24_e32 v38, 3, v37
	v_mul_f32_e32 v41, v9, v11
	v_fma_f32 v11, v26, v14, -v43
	v_lshlrev_b32_e32 v38, 3, v38
	s_delay_alu instid0(VALU_DEP_3) | instskip(SKIP_4) | instid1(VALU_DEP_3)
	v_fma_f32 v10, v8, v10, -v41
	s_wait_dscnt 0x1
	v_mul_f32_e32 v45, v7, v29
	v_and_or_b32 v25, 0xf8, v36, v30
	v_mul_f32_e32 v46, v7, v28
	v_fma_f32 v14, v6, v28, -v45
	s_delay_alu instid0(VALU_DEP_3)
	v_lshl_add_u32 v40, v25, 3, v34
	s_wait_dscnt 0x0
	v_mul_f32_e32 v25, v7, v23
	v_and_or_b32 v22, 0x78, v35, v30
	ds_load_b64 v[30:31], v0
	ds_load_b64 v[32:33], v5
	global_wb scope:SCOPE_SE
	s_wait_dscnt 0x0
	s_barrier_signal -1
	v_fmac_f32_e32 v25, v6, v24
	v_lshl_add_u32 v39, v22, 3, v34
	v_dual_mul_f32 v22, v7, v24 :: v_dual_mul_f32 v7, v9, v13
	v_mul_f32_e32 v9, v9, v12
	s_barrier_wait -1
	global_inv scope:SCOPE_SE
	v_fma_f32 v22, v6, v23, -v22
	v_fmac_f32_e32 v9, v8, v13
	v_fmac_f32_e32 v46, v6, v29
	v_fma_f32 v6, v8, v12, -v7
	v_fma_f32 v7, v26, v16, -v47
	v_sub_f32_e32 v13, v31, v42
	v_sub_f32_e32 v12, v30, v10
	s_delay_alu instid0(VALU_DEP_4)
	v_dual_sub_f32 v16, v32, v6 :: v_dual_fmac_f32 v27, v26, v17
	v_sub_f32_e32 v10, v25, v44
	v_sub_f32_e32 v17, v33, v9
	;; [unrolled: 1-line block ×3, first 2 shown]
	v_fma_f32 v23, v30, 2.0, -v12
	v_fma_f32 v24, v31, 2.0, -v13
	v_sub_f32_e32 v6, v12, v10
	v_sub_f32_e32 v8, v22, v11
	v_fma_f32 v14, v14, 2.0, -v9
	v_add_f32_e32 v9, v17, v9
	v_fma_f32 v26, v33, 2.0, -v17
	v_fma_f32 v12, v12, 2.0, -v6
	;; [unrolled: 1-line block ×5, first 2 shown]
	v_sub_f32_e32 v11, v46, v27
	v_fma_f32 v17, v17, 2.0, -v9
	v_sub_f32_e32 v10, v23, v15
	v_and_or_b32 v32, 0x60, v35, v37
	v_sub_f32_e32 v14, v25, v14
	v_fma_f32 v27, v46, 2.0, -v11
	v_dual_add_f32 v7, v13, v8 :: v_dual_sub_f32 v8, v16, v11
	v_sub_f32_e32 v11, v24, v22
	v_fma_f32 v22, v23, 2.0, -v10
	s_delay_alu instid0(VALU_DEP_4) | instskip(NEXT) | instid1(VALU_DEP_4)
	v_sub_f32_e32 v15, v26, v27
	v_fma_f32 v13, v13, 2.0, -v7
	v_fma_f32 v16, v16, 2.0, -v8
	;; [unrolled: 1-line block ×5, first 2 shown]
	ds_store_2addr_b64 v39, v[10:11], v[6:7] offset0:4 offset1:6
	ds_store_2addr_b64 v39, v[22:23], v[12:13] offset1:2
	ds_store_2addr_b64 v40, v[24:25], v[16:17] offset1:2
	ds_store_2addr_b64 v40, v[14:15], v[8:9] offset0:4 offset1:6
	global_wb scope:SCOPE_SE
	s_wait_dscnt 0x0
	s_barrier_signal -1
	s_barrier_wait -1
	global_inv scope:SCOPE_SE
	s_clause 0x1
	global_load_b128 v[6:9], v38, s[12:13] offset:48
	global_load_b64 v[22:23], v38, s[12:13] offset:64
	ds_load_b64 v[24:25], v2
	ds_load_2addr_b64 v[10:13], v3 offset0:128 offset1:160
	ds_load_2addr_b64 v[14:17], v3 offset0:192 offset1:224
	ds_load_b64 v[26:27], v4
	ds_load_b64 v[28:29], v0
	;; [unrolled: 1-line block ×3, first 2 shown]
	v_and_or_b32 v33, 0xe0, v36, v37
	v_lshl_add_u32 v32, v32, 3, v34
	global_wb scope:SCOPE_SE
	s_wait_loadcnt_dscnt 0x0
	s_barrier_signal -1
	s_barrier_wait -1
	v_lshl_add_u32 v33, v33, 3, v34
	global_inv scope:SCOPE_SE
	v_mul_f32_e32 v34, v7, v25
	v_dual_mul_f32 v35, v7, v24 :: v_dual_mul_f32 v36, v9, v11
	v_dual_mul_f32 v37, v9, v10 :: v_dual_mul_f32 v38, v23, v15
	v_mul_f32_e32 v40, v7, v27
	v_mul_f32_e32 v41, v7, v26
	;; [unrolled: 1-line block ×3, first 2 shown]
	v_dual_mul_f32 v9, v9, v12 :: v_dual_mul_f32 v42, v23, v17
	v_fma_f32 v24, v6, v24, -v34
	v_fmac_f32_e32 v35, v6, v25
	v_fma_f32 v10, v8, v10, -v36
	v_fmac_f32_e32 v37, v8, v11
	v_fma_f32 v11, v22, v14, -v38
	v_mul_f32_e32 v39, v23, v14
	v_mul_f32_e32 v23, v23, v16
	v_fma_f32 v14, v6, v26, -v40
	v_fmac_f32_e32 v41, v6, v27
	v_fma_f32 v6, v8, v12, -v7
	v_sub_f32_e32 v12, v28, v10
	v_fmac_f32_e32 v9, v8, v13
	v_fma_f32 v7, v22, v16, -v42
	v_fmac_f32_e32 v23, v22, v17
	v_sub_f32_e32 v16, v30, v6
	s_delay_alu instid0(VALU_DEP_4) | instskip(NEXT) | instid1(VALU_DEP_4)
	v_dual_sub_f32 v8, v24, v11 :: v_dual_sub_f32 v17, v31, v9
	v_sub_f32_e32 v9, v14, v7
	s_delay_alu instid0(VALU_DEP_4) | instskip(NEXT) | instid1(VALU_DEP_4)
	v_sub_f32_e32 v11, v41, v23
	v_fma_f32 v25, v30, 2.0, -v16
	s_delay_alu instid0(VALU_DEP_4) | instskip(NEXT) | instid1(VALU_DEP_4)
	v_fma_f32 v26, v31, 2.0, -v17
	v_fma_f32 v14, v14, 2.0, -v9
	v_fmac_f32_e32 v39, v22, v15
	v_fma_f32 v22, v28, 2.0, -v12
	v_fma_f32 v15, v24, 2.0, -v8
	v_sub_f32_e32 v13, v29, v37
	v_sub_f32_e32 v14, v25, v14
	;; [unrolled: 1-line block ×3, first 2 shown]
	v_fma_f32 v27, v41, 2.0, -v11
	s_delay_alu instid0(VALU_DEP_2)
	v_dual_add_f32 v9, v17, v9 :: v_dual_sub_f32 v6, v12, v10
	v_fma_f32 v24, v35, 2.0, -v10
	v_sub_f32_e32 v10, v22, v15
	v_fma_f32 v23, v29, 2.0, -v13
	v_dual_add_f32 v7, v13, v8 :: v_dual_sub_f32 v8, v16, v11
	v_sub_f32_e32 v15, v26, v27
	v_fma_f32 v12, v12, 2.0, -v6
	s_delay_alu instid0(VALU_DEP_4) | instskip(NEXT) | instid1(VALU_DEP_4)
	v_sub_f32_e32 v11, v23, v24
	v_fma_f32 v13, v13, 2.0, -v7
	v_fma_f32 v22, v22, 2.0, -v10
	;; [unrolled: 1-line block ×7, first 2 shown]
	ds_store_2addr_b64 v32, v[10:11], v[6:7] offset0:16 offset1:24
	ds_store_2addr_b64 v32, v[22:23], v[12:13] offset1:8
	ds_store_2addr_b64 v33, v[24:25], v[16:17] offset1:8
	ds_store_2addr_b64 v33, v[14:15], v[8:9] offset0:16 offset1:24
	global_wb scope:SCOPE_SE
	s_wait_dscnt 0x0
	s_barrier_signal -1
	s_barrier_wait -1
	global_inv scope:SCOPE_SE
	s_and_saveexec_b32 s8, vcc_lo
	s_cbranch_execz .LBB0_8
; %bb.7:
	v_mul_u32_u24_e32 v6, 7, v20
	v_or_b32_e32 v56, 32, v21
	v_mad_co_u64_u32 v[38:39], null, s2, v21, 0
	v_or_b32_e32 v58, 0x60, v21
	v_mad_co_u64_u32 v[28:29], null, s6, v1, 0
	s_delay_alu instid0(VALU_DEP_4)
	v_mad_co_u64_u32 v[40:41], null, s2, v56, 0
	v_lshlrev_b32_e32 v20, 3, v6
	s_clause 0x3
	global_load_b128 v[6:9], v20, s[12:13] offset:240
	global_load_b128 v[10:13], v20, s[12:13] offset:272
	;; [unrolled: 1-line block ×3, first 2 shown]
	global_load_b64 v[26:27], v20, s[12:13] offset:288
	ds_load_2addr_b64 v[22:25], v3 offset0:192 offset1:224
	ds_load_b64 v[30:31], v5
	ds_load_b64 v[32:33], v4
	ds_load_b64 v[34:35], v2
	ds_load_b64 v[36:37], v0
	ds_load_2addr_b64 v[2:5], v3 offset0:128 offset1:160
	v_or_b32_e32 v57, 64, v21
	v_mad_co_u64_u32 v[44:45], null, s2, v58, 0
	v_or_b32_e32 v59, 0x80, v21
	v_or_b32_e32 v62, 0xe0, v21
	s_delay_alu instid0(VALU_DEP_4)
	v_mad_co_u64_u32 v[42:43], null, s2, v57, 0
	v_mov_b32_e32 v20, v39
	v_mov_b32_e32 v0, v29
	v_or_b32_e32 v61, 0xc0, v21
	v_mad_co_u64_u32 v[46:47], null, s2, v59, 0
	v_mul_lo_u32 v54, s5, v18
	v_mul_lo_u32 v55, s4, v19
	v_mad_co_u64_u32 v[18:19], null, s4, v18, 0
	v_mad_co_u64_u32 v[52:53], null, s2, v62, 0
	v_or_b32_e32 v60, 0xa0, v21
	v_mov_b32_e32 v29, v45
	v_mad_co_u64_u32 v[20:21], null, s3, v21, v[20:21]
	v_mov_b32_e32 v21, v43
	v_mad_co_u64_u32 v[0:1], null, s7, v1, v[0:1]
	v_mov_b32_e32 v1, v41
	v_mad_co_u64_u32 v[50:51], null, s2, v61, 0
	s_load_b64 s[0:1], s[0:1], 0x58
	v_mov_b32_e32 v39, v47
	v_add3_u32 v19, v19, v55, v54
	v_mov_b32_e32 v45, v53
	s_wait_dscnt 0x0
	v_mad_co_u64_u32 v[53:54], null, s3, v56, v[1:2]
	v_mad_co_u64_u32 v[54:55], null, s3, v57, v[21:22]
	;; [unrolled: 1-line block ×4, first 2 shown]
	v_mov_b32_e32 v43, v51
	v_mad_co_u64_u32 v[56:57], null, s3, v59, v[39:40]
	v_mov_b32_e32 v29, v0
	v_mov_b32_e32 v41, v49
	s_delay_alu instid0(VALU_DEP_4) | instskip(SKIP_1) | instid1(VALU_DEP_4)
	v_mad_co_u64_u32 v[0:1], null, s3, v61, v[43:44]
	v_mov_b32_e32 v43, v54
	v_lshlrev_b64_e32 v[28:29], 3, v[28:29]
	v_mov_b32_e32 v47, v56
	v_lshlrev_b64_e32 v[18:19], 3, v[18:19]
	v_mad_co_u64_u32 v[57:58], null, s3, v60, v[41:42]
	v_mov_b32_e32 v41, v53
	v_mov_b32_e32 v51, v0
	s_delay_alu instid0(VALU_DEP_2) | instskip(SKIP_1) | instid1(VALU_DEP_4)
	v_lshlrev_b64_e32 v[0:1], 3, v[40:41]
	s_wait_loadcnt 0x0
	v_dual_mov_b32 v49, v57 :: v_dual_mul_f32 v54, v26, v25
	v_mov_b32_e32 v39, v20
	v_mad_co_u64_u32 v[20:21], null, s3, v62, v[45:46]
	v_mov_b32_e32 v45, v55
	s_delay_alu instid0(VALU_DEP_4) | instskip(NEXT) | instid1(VALU_DEP_4)
	v_fmac_f32_e32 v54, v27, v24
	v_lshlrev_b64_e32 v[38:39], 3, v[38:39]
	v_mul_f32_e32 v25, v27, v25
	s_delay_alu instid0(VALU_DEP_4)
	v_lshlrev_b64_e32 v[40:41], 3, v[44:45]
	v_mov_b32_e32 v53, v20
	v_lshlrev_b64_e32 v[20:21], 3, v[42:43]
	v_lshlrev_b64_e32 v[42:43], 3, v[46:47]
	s_wait_kmcnt 0x0
	v_add_co_u32 v46, vcc_lo, s0, v28
	s_wait_alu 0xfffd
	v_add_co_ci_u32_e32 v47, vcc_lo, s1, v29, vcc_lo
	v_lshlrev_b64_e32 v[28:29], 3, v[50:51]
	s_delay_alu instid0(VALU_DEP_3) | instskip(SKIP_1) | instid1(VALU_DEP_3)
	v_add_co_u32 v46, vcc_lo, v46, v18
	s_wait_alu 0xfffd
	v_add_co_ci_u32_e32 v47, vcc_lo, v47, v19, vcc_lo
	v_lshlrev_b64_e32 v[18:19], 3, v[52:53]
	v_mul_f32_e32 v51, v7, v31
	v_mul_f32_e32 v52, v11, v5
	v_mul_f32_e32 v53, v14, v33
	v_lshlrev_b64_e32 v[44:45], 3, v[48:49]
	v_mul_f32_e32 v48, v9, v35
	v_mul_f32_e32 v31, v6, v31
	;; [unrolled: 1-line block ×4, first 2 shown]
	v_fma_f32 v6, v6, v30, -v51
	v_fma_f32 v10, v10, v4, -v52
	v_dual_fmac_f32 v53, v15, v32 :: v_dual_mul_f32 v50, v16, v3
	v_mul_f32_e32 v3, v17, v3
	v_fmac_f32_e32 v35, v9, v34
	s_delay_alu instid0(VALU_DEP_4) | instskip(NEXT) | instid1(VALU_DEP_4)
	v_sub_f32_e32 v9, v6, v10
	v_sub_f32_e32 v10, v53, v54
	v_add_co_u32 v38, vcc_lo, v46, v38
	v_fmac_f32_e32 v50, v17, v2
	v_fma_f32 v2, v16, v2, -v3
	s_delay_alu instid0(VALU_DEP_4)
	v_sub_f32_e32 v16, v9, v10
	v_fma_f32 v10, v53, 2.0, -v10
	v_mul_f32_e32 v49, v13, v23
	v_mul_f32_e32 v23, v12, v23
	s_wait_alu 0xfffd
	v_add_co_ci_u32_e32 v39, vcc_lo, v47, v39, vcc_lo
	v_add_co_u32 v0, vcc_lo, v46, v0
	s_wait_alu 0xfffd
	v_add_co_ci_u32_e32 v1, vcc_lo, v47, v1, vcc_lo
	v_fma_f32 v8, v8, v34, -v48
	v_fma_f32 v12, v12, v22, -v49
	v_fmac_f32_e32 v31, v7, v30
	v_fmac_f32_e32 v5, v11, v4
	;; [unrolled: 1-line block ×3, first 2 shown]
	v_add_co_u32 v20, vcc_lo, v46, v20
	s_wait_alu 0xfffd
	v_add_co_ci_u32_e32 v21, vcc_lo, v47, v21, vcc_lo
	v_add_co_u32 v40, vcc_lo, v46, v40
	v_sub_f32_e32 v4, v8, v12
	v_dual_sub_f32 v12, v31, v5 :: v_dual_sub_f32 v13, v36, v2
	v_sub_f32_e32 v5, v35, v23
	s_wait_alu 0xfffd
	v_add_co_ci_u32_e32 v41, vcc_lo, v47, v41, vcc_lo
	v_add_co_u32 v42, vcc_lo, v46, v42
	s_wait_alu 0xfffd
	v_add_co_ci_u32_e32 v43, vcc_lo, v47, v43, vcc_lo
	v_add_co_u32 v44, vcc_lo, v46, v44
	v_sub_f32_e32 v22, v13, v5
	s_wait_alu 0xfffd
	v_add_co_ci_u32_e32 v45, vcc_lo, v47, v45, vcc_lo
	v_add_co_u32 v2, vcc_lo, v46, v28
	s_wait_alu 0xfffd
	v_add_co_ci_u32_e32 v3, vcc_lo, v47, v29, vcc_lo
	v_fma_f32 v29, v9, 2.0, -v16
	v_fma_f32 v30, v13, 2.0, -v22
	v_mul_f32_e32 v33, v15, v33
	v_fma_f32 v15, v24, v26, -v25
	v_sub_f32_e32 v7, v37, v50
	v_fma_f32 v24, v35, 2.0, -v5
	v_fma_f32 v25, v6, 2.0, -v9
	v_fma_f32 v14, v14, v32, -v33
	v_fma_f32 v8, v8, 2.0, -v4
	v_fma_f32 v23, v37, 2.0, -v7
	v_add_co_u32 v18, vcc_lo, v46, v18
	s_delay_alu instid0(VALU_DEP_4) | instskip(NEXT) | instid1(VALU_DEP_3)
	v_sub_f32_e32 v11, v14, v15
	v_dual_add_f32 v15, v4, v7 :: v_dual_sub_f32 v24, v23, v24
	v_fmamk_f32 v4, v16, 0x3f3504f3, v22
	s_wait_alu 0xfffd
	v_add_co_ci_u32_e32 v19, vcc_lo, v47, v19, vcc_lo
	v_add_f32_e32 v17, v12, v11
	v_fma_f32 v6, v14, 2.0, -v11
	v_fma_f32 v11, v36, 2.0, -v13
	;; [unrolled: 1-line block ×4, first 2 shown]
	v_fmamk_f32 v5, v17, 0x3f3504f3, v15
	s_delay_alu instid0(VALU_DEP_4)
	v_dual_sub_f32 v26, v25, v6 :: v_dual_sub_f32 v27, v11, v8
	v_fmamk_f32 v8, v29, 0xbf3504f3, v30
	v_sub_f32_e32 v10, v14, v10
	v_fma_f32 v12, v12, 2.0, -v17
	v_fmac_f32_e32 v5, 0x3f3504f3, v16
	v_fma_f32 v23, v23, 2.0, -v24
	v_fma_f32 v31, v11, 2.0, -v27
	;; [unrolled: 1-line block ×4, first 2 shown]
	v_fmamk_f32 v9, v12, 0xbf3504f3, v28
	v_fmac_f32_e32 v4, 0xbf3504f3, v17
	v_fma_f32 v11, v15, 2.0, -v5
	v_sub_f32_e32 v15, v23, v14
	s_delay_alu instid0(VALU_DEP_4)
	v_dual_sub_f32 v14, v31, v16 :: v_dual_fmac_f32 v9, 0x3f3504f3, v29
	v_dual_fmac_f32 v8, 0xbf3504f3, v12 :: v_dual_add_f32 v7, v24, v26
	v_sub_f32_e32 v6, v27, v10
	v_fma_f32 v10, v22, 2.0, -v4
	v_fma_f32 v23, v23, 2.0, -v15
	;; [unrolled: 1-line block ×7, first 2 shown]
	s_clause 0x7
	global_store_b64 v[38:39], v[22:23], off
	global_store_b64 v[0:1], v[16:17], off
	;; [unrolled: 1-line block ×8, first 2 shown]
.LBB0_8:
	s_nop 0
	s_sendmsg sendmsg(MSG_DEALLOC_VGPRS)
	s_endpgm
	.section	.rodata,"a",@progbits
	.p2align	6, 0x0
	.amdhsa_kernel fft_rtc_fwd_len256_factors_2_4_4_8_wgs_128_tpt_32_dim2_sp_op_CI_CI_sbrr_dirReg
		.amdhsa_group_segment_fixed_size 0
		.amdhsa_private_segment_fixed_size 0
		.amdhsa_kernarg_size 96
		.amdhsa_user_sgpr_count 2
		.amdhsa_user_sgpr_dispatch_ptr 0
		.amdhsa_user_sgpr_queue_ptr 0
		.amdhsa_user_sgpr_kernarg_segment_ptr 1
		.amdhsa_user_sgpr_dispatch_id 0
		.amdhsa_user_sgpr_private_segment_size 0
		.amdhsa_wavefront_size32 1
		.amdhsa_uses_dynamic_stack 0
		.amdhsa_enable_private_segment 0
		.amdhsa_system_sgpr_workgroup_id_x 1
		.amdhsa_system_sgpr_workgroup_id_y 0
		.amdhsa_system_sgpr_workgroup_id_z 0
		.amdhsa_system_sgpr_workgroup_info 0
		.amdhsa_system_vgpr_workitem_id 0
		.amdhsa_next_free_vgpr 63
		.amdhsa_next_free_sgpr 15
		.amdhsa_reserve_vcc 1
		.amdhsa_float_round_mode_32 0
		.amdhsa_float_round_mode_16_64 0
		.amdhsa_float_denorm_mode_32 3
		.amdhsa_float_denorm_mode_16_64 3
		.amdhsa_fp16_overflow 0
		.amdhsa_workgroup_processor_mode 1
		.amdhsa_memory_ordered 1
		.amdhsa_forward_progress 0
		.amdhsa_round_robin_scheduling 0
		.amdhsa_exception_fp_ieee_invalid_op 0
		.amdhsa_exception_fp_denorm_src 0
		.amdhsa_exception_fp_ieee_div_zero 0
		.amdhsa_exception_fp_ieee_overflow 0
		.amdhsa_exception_fp_ieee_underflow 0
		.amdhsa_exception_fp_ieee_inexact 0
		.amdhsa_exception_int_div_zero 0
	.end_amdhsa_kernel
	.text
.Lfunc_end0:
	.size	fft_rtc_fwd_len256_factors_2_4_4_8_wgs_128_tpt_32_dim2_sp_op_CI_CI_sbrr_dirReg, .Lfunc_end0-fft_rtc_fwd_len256_factors_2_4_4_8_wgs_128_tpt_32_dim2_sp_op_CI_CI_sbrr_dirReg
                                        ; -- End function
	.section	.AMDGPU.csdata,"",@progbits
; Kernel info:
; codeLenInByte = 3772
; NumSgprs: 17
; NumVgprs: 63
; ScratchSize: 0
; MemoryBound: 0
; FloatMode: 240
; IeeeMode: 1
; LDSByteSize: 0 bytes/workgroup (compile time only)
; SGPRBlocks: 2
; VGPRBlocks: 7
; NumSGPRsForWavesPerEU: 17
; NumVGPRsForWavesPerEU: 63
; Occupancy: 16
; WaveLimiterHint : 1
; COMPUTE_PGM_RSRC2:SCRATCH_EN: 0
; COMPUTE_PGM_RSRC2:USER_SGPR: 2
; COMPUTE_PGM_RSRC2:TRAP_HANDLER: 0
; COMPUTE_PGM_RSRC2:TGID_X_EN: 1
; COMPUTE_PGM_RSRC2:TGID_Y_EN: 0
; COMPUTE_PGM_RSRC2:TGID_Z_EN: 0
; COMPUTE_PGM_RSRC2:TIDIG_COMP_CNT: 0
	.text
	.p2alignl 7, 3214868480
	.fill 96, 4, 3214868480
	.type	__hip_cuid_21fe3d0b3ea8ac2,@object ; @__hip_cuid_21fe3d0b3ea8ac2
	.section	.bss,"aw",@nobits
	.globl	__hip_cuid_21fe3d0b3ea8ac2
__hip_cuid_21fe3d0b3ea8ac2:
	.byte	0                               ; 0x0
	.size	__hip_cuid_21fe3d0b3ea8ac2, 1

	.ident	"AMD clang version 19.0.0git (https://github.com/RadeonOpenCompute/llvm-project roc-6.4.0 25133 c7fe45cf4b819c5991fe208aaa96edf142730f1d)"
	.section	".note.GNU-stack","",@progbits
	.addrsig
	.addrsig_sym __hip_cuid_21fe3d0b3ea8ac2
	.amdgpu_metadata
---
amdhsa.kernels:
  - .args:
      - .actual_access:  read_only
        .address_space:  global
        .offset:         0
        .size:           8
        .value_kind:     global_buffer
      - .actual_access:  read_only
        .address_space:  global
        .offset:         8
        .size:           8
        .value_kind:     global_buffer
      - .actual_access:  read_only
        .address_space:  global
        .offset:         16
        .size:           8
        .value_kind:     global_buffer
      - .actual_access:  read_only
        .address_space:  global
        .offset:         24
        .size:           8
        .value_kind:     global_buffer
      - .offset:         32
        .size:           8
        .value_kind:     by_value
      - .actual_access:  read_only
        .address_space:  global
        .offset:         40
        .size:           8
        .value_kind:     global_buffer
      - .actual_access:  read_only
        .address_space:  global
        .offset:         48
        .size:           8
        .value_kind:     global_buffer
      - .offset:         56
        .size:           4
        .value_kind:     by_value
      - .actual_access:  read_only
        .address_space:  global
        .offset:         64
        .size:           8
        .value_kind:     global_buffer
      - .actual_access:  read_only
        .address_space:  global
        .offset:         72
        .size:           8
        .value_kind:     global_buffer
      - .actual_access:  read_only
        .address_space:  global
        .offset:         80
        .size:           8
        .value_kind:     global_buffer
      - .actual_access:  write_only
        .address_space:  global
        .offset:         88
        .size:           8
        .value_kind:     global_buffer
    .group_segment_fixed_size: 0
    .kernarg_segment_align: 8
    .kernarg_segment_size: 96
    .language:       OpenCL C
    .language_version:
      - 2
      - 0
    .max_flat_workgroup_size: 128
    .name:           fft_rtc_fwd_len256_factors_2_4_4_8_wgs_128_tpt_32_dim2_sp_op_CI_CI_sbrr_dirReg
    .private_segment_fixed_size: 0
    .sgpr_count:     17
    .sgpr_spill_count: 0
    .symbol:         fft_rtc_fwd_len256_factors_2_4_4_8_wgs_128_tpt_32_dim2_sp_op_CI_CI_sbrr_dirReg.kd
    .uniform_work_group_size: 1
    .uses_dynamic_stack: false
    .vgpr_count:     63
    .vgpr_spill_count: 0
    .wavefront_size: 32
    .workgroup_processor_mode: 1
amdhsa.target:   amdgcn-amd-amdhsa--gfx1201
amdhsa.version:
  - 1
  - 2
...

	.end_amdgpu_metadata
